;; amdgpu-corpus repo=ROCm/rocFFT kind=compiled arch=gfx1201 opt=O3
	.text
	.amdgcn_target "amdgcn-amd-amdhsa--gfx1201"
	.amdhsa_code_object_version 6
	.protected	fft_rtc_fwd_len1664_factors_13_2_2_4_2_2_2_wgs_208_tpt_208_halfLds_dp_ip_CI_sbrr_dirReg ; -- Begin function fft_rtc_fwd_len1664_factors_13_2_2_4_2_2_2_wgs_208_tpt_208_halfLds_dp_ip_CI_sbrr_dirReg
	.globl	fft_rtc_fwd_len1664_factors_13_2_2_4_2_2_2_wgs_208_tpt_208_halfLds_dp_ip_CI_sbrr_dirReg
	.p2align	8
	.type	fft_rtc_fwd_len1664_factors_13_2_2_4_2_2_2_wgs_208_tpt_208_halfLds_dp_ip_CI_sbrr_dirReg,@function
fft_rtc_fwd_len1664_factors_13_2_2_4_2_2_2_wgs_208_tpt_208_halfLds_dp_ip_CI_sbrr_dirReg: ; @fft_rtc_fwd_len1664_factors_13_2_2_4_2_2_2_wgs_208_tpt_208_halfLds_dp_ip_CI_sbrr_dirReg
; %bb.0:
	s_clause 0x2
	s_load_b64 s[12:13], s[0:1], 0x18
	s_load_b128 s[4:7], s[0:1], 0x0
	s_load_b64 s[10:11], s[0:1], 0x50
	v_mul_u32_u24_e32 v1, 0x13c, v0
	v_mov_b32_e32 v3, 0
	s_delay_alu instid0(VALU_DEP_2) | instskip(NEXT) | instid1(VALU_DEP_1)
	v_lshrrev_b32_e32 v1, 16, v1
	v_add_nc_u32_e32 v5, ttmp9, v1
	v_mov_b32_e32 v1, 0
	v_mov_b32_e32 v2, 0
	;; [unrolled: 1-line block ×3, first 2 shown]
	s_wait_kmcnt 0x0
	s_load_b64 s[8:9], s[12:13], 0x0
	v_cmp_lt_u64_e64 s2, s[6:7], 2
	s_delay_alu instid0(VALU_DEP_1)
	s_and_b32 vcc_lo, exec_lo, s2
	s_cbranch_vccnz .LBB0_8
; %bb.1:
	s_load_b64 s[2:3], s[0:1], 0x10
	v_mov_b32_e32 v1, 0
	v_mov_b32_e32 v2, 0
	s_add_nc_u64 s[14:15], s[12:13], 8
	s_mov_b64 s[16:17], 1
	s_wait_kmcnt 0x0
	s_add_nc_u64 s[18:19], s[2:3], 8
	s_mov_b32 s3, 0
.LBB0_2:                                ; =>This Inner Loop Header: Depth=1
	s_load_b64 s[20:21], s[18:19], 0x0
                                        ; implicit-def: $vgpr7_vgpr8
	s_mov_b32 s2, exec_lo
	s_wait_kmcnt 0x0
	v_or_b32_e32 v4, s21, v6
	s_delay_alu instid0(VALU_DEP_1)
	v_cmpx_ne_u64_e32 0, v[3:4]
	s_wait_alu 0xfffe
	s_xor_b32 s22, exec_lo, s2
	s_cbranch_execz .LBB0_4
; %bb.3:                                ;   in Loop: Header=BB0_2 Depth=1
	s_cvt_f32_u32 s2, s20
	s_cvt_f32_u32 s23, s21
	s_sub_nc_u64 s[26:27], 0, s[20:21]
	s_wait_alu 0xfffe
	s_delay_alu instid0(SALU_CYCLE_1) | instskip(SKIP_1) | instid1(SALU_CYCLE_2)
	s_fmamk_f32 s2, s23, 0x4f800000, s2
	s_wait_alu 0xfffe
	v_s_rcp_f32 s2, s2
	s_delay_alu instid0(TRANS32_DEP_1) | instskip(SKIP_1) | instid1(SALU_CYCLE_2)
	s_mul_f32 s2, s2, 0x5f7ffffc
	s_wait_alu 0xfffe
	s_mul_f32 s23, s2, 0x2f800000
	s_wait_alu 0xfffe
	s_delay_alu instid0(SALU_CYCLE_2) | instskip(SKIP_1) | instid1(SALU_CYCLE_2)
	s_trunc_f32 s23, s23
	s_wait_alu 0xfffe
	s_fmamk_f32 s2, s23, 0xcf800000, s2
	s_cvt_u32_f32 s25, s23
	s_wait_alu 0xfffe
	s_delay_alu instid0(SALU_CYCLE_1) | instskip(SKIP_1) | instid1(SALU_CYCLE_2)
	s_cvt_u32_f32 s24, s2
	s_wait_alu 0xfffe
	s_mul_u64 s[28:29], s[26:27], s[24:25]
	s_wait_alu 0xfffe
	s_mul_hi_u32 s31, s24, s29
	s_mul_i32 s30, s24, s29
	s_mul_hi_u32 s2, s24, s28
	s_mul_i32 s33, s25, s28
	s_wait_alu 0xfffe
	s_add_nc_u64 s[30:31], s[2:3], s[30:31]
	s_mul_hi_u32 s23, s25, s28
	s_mul_hi_u32 s34, s25, s29
	s_add_co_u32 s2, s30, s33
	s_wait_alu 0xfffe
	s_add_co_ci_u32 s2, s31, s23
	s_mul_i32 s28, s25, s29
	s_add_co_ci_u32 s29, s34, 0
	s_wait_alu 0xfffe
	s_add_nc_u64 s[28:29], s[2:3], s[28:29]
	s_wait_alu 0xfffe
	v_add_co_u32 v4, s2, s24, s28
	s_delay_alu instid0(VALU_DEP_1) | instskip(SKIP_1) | instid1(VALU_DEP_1)
	s_cmp_lg_u32 s2, 0
	s_add_co_ci_u32 s25, s25, s29
	v_readfirstlane_b32 s24, v4
	s_wait_alu 0xfffe
	s_delay_alu instid0(VALU_DEP_1)
	s_mul_u64 s[26:27], s[26:27], s[24:25]
	s_wait_alu 0xfffe
	s_mul_hi_u32 s29, s24, s27
	s_mul_i32 s28, s24, s27
	s_mul_hi_u32 s2, s24, s26
	s_mul_i32 s30, s25, s26
	s_wait_alu 0xfffe
	s_add_nc_u64 s[28:29], s[2:3], s[28:29]
	s_mul_hi_u32 s23, s25, s26
	s_mul_hi_u32 s24, s25, s27
	s_wait_alu 0xfffe
	s_add_co_u32 s2, s28, s30
	s_add_co_ci_u32 s2, s29, s23
	s_mul_i32 s26, s25, s27
	s_add_co_ci_u32 s27, s24, 0
	s_wait_alu 0xfffe
	s_add_nc_u64 s[26:27], s[2:3], s[26:27]
	s_wait_alu 0xfffe
	v_add_co_u32 v4, s2, v4, s26
	s_delay_alu instid0(VALU_DEP_1) | instskip(SKIP_1) | instid1(VALU_DEP_1)
	s_cmp_lg_u32 s2, 0
	s_add_co_ci_u32 s2, s25, s27
	v_mul_hi_u32 v13, v5, v4
	s_wait_alu 0xfffe
	v_mad_co_u64_u32 v[7:8], null, v5, s2, 0
	v_mad_co_u64_u32 v[9:10], null, v6, v4, 0
	;; [unrolled: 1-line block ×3, first 2 shown]
	s_delay_alu instid0(VALU_DEP_3) | instskip(SKIP_1) | instid1(VALU_DEP_4)
	v_add_co_u32 v4, vcc_lo, v13, v7
	s_wait_alu 0xfffd
	v_add_co_ci_u32_e32 v7, vcc_lo, 0, v8, vcc_lo
	s_delay_alu instid0(VALU_DEP_2) | instskip(SKIP_1) | instid1(VALU_DEP_2)
	v_add_co_u32 v4, vcc_lo, v4, v9
	s_wait_alu 0xfffd
	v_add_co_ci_u32_e32 v4, vcc_lo, v7, v10, vcc_lo
	s_wait_alu 0xfffd
	v_add_co_ci_u32_e32 v7, vcc_lo, 0, v12, vcc_lo
	s_delay_alu instid0(VALU_DEP_2) | instskip(SKIP_1) | instid1(VALU_DEP_2)
	v_add_co_u32 v4, vcc_lo, v4, v11
	s_wait_alu 0xfffd
	v_add_co_ci_u32_e32 v9, vcc_lo, 0, v7, vcc_lo
	s_delay_alu instid0(VALU_DEP_2) | instskip(SKIP_1) | instid1(VALU_DEP_3)
	v_mul_lo_u32 v10, s21, v4
	v_mad_co_u64_u32 v[7:8], null, s20, v4, 0
	v_mul_lo_u32 v11, s20, v9
	s_delay_alu instid0(VALU_DEP_2) | instskip(NEXT) | instid1(VALU_DEP_2)
	v_sub_co_u32 v7, vcc_lo, v5, v7
	v_add3_u32 v8, v8, v11, v10
	s_delay_alu instid0(VALU_DEP_1) | instskip(SKIP_1) | instid1(VALU_DEP_1)
	v_sub_nc_u32_e32 v10, v6, v8
	s_wait_alu 0xfffd
	v_subrev_co_ci_u32_e64 v10, s2, s21, v10, vcc_lo
	v_add_co_u32 v11, s2, v4, 2
	s_wait_alu 0xf1ff
	v_add_co_ci_u32_e64 v12, s2, 0, v9, s2
	v_sub_co_u32 v13, s2, v7, s20
	v_sub_co_ci_u32_e32 v8, vcc_lo, v6, v8, vcc_lo
	s_wait_alu 0xf1ff
	v_subrev_co_ci_u32_e64 v10, s2, 0, v10, s2
	s_delay_alu instid0(VALU_DEP_3) | instskip(NEXT) | instid1(VALU_DEP_3)
	v_cmp_le_u32_e32 vcc_lo, s20, v13
	v_cmp_eq_u32_e64 s2, s21, v8
	s_wait_alu 0xfffd
	v_cndmask_b32_e64 v13, 0, -1, vcc_lo
	v_cmp_le_u32_e32 vcc_lo, s21, v10
	s_wait_alu 0xfffd
	v_cndmask_b32_e64 v14, 0, -1, vcc_lo
	v_cmp_le_u32_e32 vcc_lo, s20, v7
	;; [unrolled: 3-line block ×3, first 2 shown]
	s_wait_alu 0xfffd
	v_cndmask_b32_e64 v15, 0, -1, vcc_lo
	v_cmp_eq_u32_e32 vcc_lo, s21, v10
	s_wait_alu 0xf1ff
	s_delay_alu instid0(VALU_DEP_2)
	v_cndmask_b32_e64 v7, v15, v7, s2
	s_wait_alu 0xfffd
	v_cndmask_b32_e32 v10, v14, v13, vcc_lo
	v_add_co_u32 v13, vcc_lo, v4, 1
	s_wait_alu 0xfffd
	v_add_co_ci_u32_e32 v14, vcc_lo, 0, v9, vcc_lo
	s_delay_alu instid0(VALU_DEP_3) | instskip(SKIP_2) | instid1(VALU_DEP_3)
	v_cmp_ne_u32_e32 vcc_lo, 0, v10
	s_wait_alu 0xfffd
	v_cndmask_b32_e32 v10, v13, v11, vcc_lo
	v_cndmask_b32_e32 v8, v14, v12, vcc_lo
	v_cmp_ne_u32_e32 vcc_lo, 0, v7
	s_wait_alu 0xfffd
	s_delay_alu instid0(VALU_DEP_2)
	v_dual_cndmask_b32 v7, v4, v10 :: v_dual_cndmask_b32 v8, v9, v8
.LBB0_4:                                ;   in Loop: Header=BB0_2 Depth=1
	s_wait_alu 0xfffe
	s_and_not1_saveexec_b32 s2, s22
	s_cbranch_execz .LBB0_6
; %bb.5:                                ;   in Loop: Header=BB0_2 Depth=1
	v_cvt_f32_u32_e32 v4, s20
	s_sub_co_i32 s22, 0, s20
	s_delay_alu instid0(VALU_DEP_1) | instskip(NEXT) | instid1(TRANS32_DEP_1)
	v_rcp_iflag_f32_e32 v4, v4
	v_mul_f32_e32 v4, 0x4f7ffffe, v4
	s_delay_alu instid0(VALU_DEP_1) | instskip(SKIP_1) | instid1(VALU_DEP_1)
	v_cvt_u32_f32_e32 v4, v4
	s_wait_alu 0xfffe
	v_mul_lo_u32 v7, s22, v4
	s_delay_alu instid0(VALU_DEP_1) | instskip(NEXT) | instid1(VALU_DEP_1)
	v_mul_hi_u32 v7, v4, v7
	v_add_nc_u32_e32 v4, v4, v7
	s_delay_alu instid0(VALU_DEP_1) | instskip(NEXT) | instid1(VALU_DEP_1)
	v_mul_hi_u32 v4, v5, v4
	v_mul_lo_u32 v7, v4, s20
	v_add_nc_u32_e32 v8, 1, v4
	s_delay_alu instid0(VALU_DEP_2) | instskip(NEXT) | instid1(VALU_DEP_1)
	v_sub_nc_u32_e32 v7, v5, v7
	v_subrev_nc_u32_e32 v9, s20, v7
	v_cmp_le_u32_e32 vcc_lo, s20, v7
	s_wait_alu 0xfffd
	s_delay_alu instid0(VALU_DEP_2) | instskip(NEXT) | instid1(VALU_DEP_1)
	v_dual_cndmask_b32 v7, v7, v9 :: v_dual_cndmask_b32 v4, v4, v8
	v_cmp_le_u32_e32 vcc_lo, s20, v7
	s_delay_alu instid0(VALU_DEP_2) | instskip(SKIP_1) | instid1(VALU_DEP_1)
	v_add_nc_u32_e32 v8, 1, v4
	s_wait_alu 0xfffd
	v_dual_cndmask_b32 v7, v4, v8 :: v_dual_mov_b32 v8, v3
.LBB0_6:                                ;   in Loop: Header=BB0_2 Depth=1
	s_wait_alu 0xfffe
	s_or_b32 exec_lo, exec_lo, s2
	s_load_b64 s[22:23], s[14:15], 0x0
	s_delay_alu instid0(VALU_DEP_1)
	v_mul_lo_u32 v4, v8, s20
	v_mul_lo_u32 v11, v7, s21
	v_mad_co_u64_u32 v[9:10], null, v7, s20, 0
	s_add_nc_u64 s[16:17], s[16:17], 1
	s_add_nc_u64 s[14:15], s[14:15], 8
	s_wait_alu 0xfffe
	v_cmp_ge_u64_e64 s2, s[16:17], s[6:7]
	s_add_nc_u64 s[18:19], s[18:19], 8
	s_delay_alu instid0(VALU_DEP_2) | instskip(NEXT) | instid1(VALU_DEP_3)
	v_add3_u32 v4, v10, v11, v4
	v_sub_co_u32 v5, vcc_lo, v5, v9
	s_wait_alu 0xfffd
	s_delay_alu instid0(VALU_DEP_2) | instskip(SKIP_3) | instid1(VALU_DEP_2)
	v_sub_co_ci_u32_e32 v4, vcc_lo, v6, v4, vcc_lo
	s_and_b32 vcc_lo, exec_lo, s2
	s_wait_kmcnt 0x0
	v_mul_lo_u32 v6, s23, v5
	v_mul_lo_u32 v4, s22, v4
	v_mad_co_u64_u32 v[1:2], null, s22, v5, v[1:2]
	s_delay_alu instid0(VALU_DEP_1)
	v_add3_u32 v2, v6, v2, v4
	s_wait_alu 0xfffe
	s_cbranch_vccnz .LBB0_9
; %bb.7:                                ;   in Loop: Header=BB0_2 Depth=1
	v_dual_mov_b32 v5, v7 :: v_dual_mov_b32 v6, v8
	s_branch .LBB0_2
.LBB0_8:
	v_dual_mov_b32 v8, v6 :: v_dual_mov_b32 v7, v5
.LBB0_9:
	s_lshl_b64 s[2:3], s[6:7], 3
	v_mul_hi_u32 v3, 0x13b13b2, v0
	s_wait_alu 0xfffe
	s_add_nc_u64 s[2:3], s[12:13], s[2:3]
                                        ; implicit-def: $vgpr38_vgpr39
                                        ; implicit-def: $vgpr46_vgpr47
                                        ; implicit-def: $vgpr14_vgpr15
                                        ; implicit-def: $vgpr22_vgpr23
                                        ; implicit-def: $vgpr10_vgpr11
                                        ; implicit-def: $vgpr18_vgpr19
                                        ; implicit-def: $vgpr30_vgpr31
                                        ; implicit-def: $vgpr50_vgpr51
                                        ; implicit-def: $vgpr26_vgpr27
                                        ; implicit-def: $vgpr34_vgpr35
                                        ; implicit-def: $vgpr42_vgpr43
	s_load_b64 s[2:3], s[2:3], 0x0
	s_load_b64 s[0:1], s[0:1], 0x20
	s_delay_alu instid0(VALU_DEP_1) | instskip(NEXT) | instid1(VALU_DEP_1)
	v_mul_u32_u24_e32 v3, 0xd0, v3
	v_sub_nc_u32_e32 v68, v0, v3
	s_wait_kmcnt 0x0
	v_mul_lo_u32 v4, s2, v8
	v_mul_lo_u32 v5, s3, v7
	v_mad_co_u64_u32 v[1:2], null, s2, v7, v[1:2]
	v_cmp_gt_u64_e32 vcc_lo, s[0:1], v[7:8]
	v_cmp_gt_u32_e64 s0, 0x80, v68
                                        ; implicit-def: $vgpr6_vgpr7
	s_delay_alu instid0(VALU_DEP_1) | instskip(NEXT) | instid1(VALU_DEP_3)
	s_and_b32 s1, vcc_lo, s0
	v_add3_u32 v2, v5, v2, v4
	s_delay_alu instid0(VALU_DEP_1)
	v_lshlrev_b64_e32 v[70:71], 4, v[1:2]
                                        ; implicit-def: $vgpr2_vgpr3
	s_wait_alu 0xfffe
	s_and_saveexec_b32 s2, s1
	s_cbranch_execz .LBB0_11
; %bb.10:
	v_or_b32_e32 v6, 0x80, v68
	v_mad_co_u64_u32 v[0:1], null, s8, v68, 0
	v_or_b32_e32 v7, 0x100, v68
	v_or_b32_e32 v12, 0x180, v68
	s_delay_alu instid0(VALU_DEP_4) | instskip(SKIP_1) | instid1(VALU_DEP_4)
	v_mad_co_u64_u32 v[2:3], null, s8, v6, 0
	v_add_co_u32 v50, s1, s10, v70
	v_mad_co_u64_u32 v[8:9], null, s8, v7, 0
	s_delay_alu instid0(VALU_DEP_4) | instskip(NEXT) | instid1(VALU_DEP_4)
	v_mad_co_u64_u32 v[10:11], null, s8, v12, 0
	v_mad_co_u64_u32 v[4:5], null, s9, v68, v[1:2]
	v_mov_b32_e32 v1, v3
	s_wait_alu 0xf1ff
	v_add_co_ci_u32_e64 v51, s1, s11, v71, s1
	v_or_b32_e32 v14, 0x200, v68
	v_or_b32_e32 v16, 0x280, v68
	v_mad_co_u64_u32 v[5:6], null, s9, v6, v[1:2]
	v_dual_mov_b32 v1, v4 :: v_dual_mov_b32 v4, v9
	v_or_b32_e32 v52, 0x580, v68
	v_or_b32_e32 v18, 0x300, v68
	v_or_b32_e32 v19, 0x380, v68
	s_delay_alu instid0(VALU_DEP_4) | instskip(SKIP_4) | instid1(VALU_DEP_4)
	v_lshlrev_b64_e32 v[0:1], 4, v[0:1]
	v_mov_b32_e32 v3, v5
	v_mov_b32_e32 v5, v11
	v_mad_co_u64_u32 v[28:29], null, s8, v52, 0
	v_or_b32_e32 v20, 0x480, v68
	v_lshlrev_b64_e32 v[2:3], 4, v[2:3]
	v_add_co_u32 v0, s1, v50, v0
	v_mad_co_u64_u32 v[6:7], null, s9, v7, v[4:5]
	s_wait_alu 0xf1ff
	v_add_co_ci_u32_e64 v1, s1, v51, v1, s1
	s_delay_alu instid0(VALU_DEP_4) | instskip(SKIP_2) | instid1(VALU_DEP_4)
	v_add_co_u32 v2, s1, v50, v2
	s_wait_alu 0xf1ff
	v_add_co_ci_u32_e64 v3, s1, v51, v3, s1
	v_mad_co_u64_u32 v[11:12], null, s9, v12, v[5:6]
	v_mov_b32_e32 v9, v6
	s_clause 0x1
	global_load_b128 v[4:7], v[0:1], off
	global_load_b128 v[36:39], v[2:3], off
	v_mad_co_u64_u32 v[12:13], null, s8, v14, 0
	v_or_b32_e32 v21, 0x500, v68
	v_lshlrev_b64_e32 v[0:1], 4, v[8:9]
	v_mad_co_u64_u32 v[8:9], null, s8, v16, 0
	v_lshlrev_b64_e32 v[10:11], 4, v[10:11]
	v_or_b32_e32 v53, 0x600, v68
	v_mov_b32_e32 v2, v13
	v_add_co_u32 v0, s1, v50, v0
	s_wait_alu 0xf1ff
	v_add_co_ci_u32_e64 v1, s1, v51, v1, s1
	s_delay_alu instid0(VALU_DEP_3)
	v_mad_co_u64_u32 v[2:3], null, s9, v14, v[2:3]
	v_mov_b32_e32 v3, v9
	v_mad_co_u64_u32 v[14:15], null, s8, v18, 0
	v_add_co_u32 v9, s1, v50, v10
	s_wait_alu 0xf1ff
	v_add_co_ci_u32_e64 v10, s1, v51, v11, s1
	v_mov_b32_e32 v13, v2
	s_clause 0x1
	global_load_b128 v[44:47], v[0:1], off
	global_load_b128 v[40:43], v[9:10], off
	v_mad_co_u64_u32 v[48:49], null, s8, v53, 0
	v_lshlrev_b64_e32 v[0:1], 4, v[12:13]
	s_delay_alu instid0(VALU_DEP_1) | instskip(SKIP_1) | instid1(VALU_DEP_2)
	v_add_co_u32 v0, s1, v50, v0
	s_wait_alu 0xf1ff
	v_add_co_ci_u32_e64 v1, s1, v51, v1, s1
	s_wait_loadcnt 0x3
	v_mad_co_u64_u32 v[2:3], null, s9, v16, v[3:4]
	v_mad_co_u64_u32 v[16:17], null, s8, v19, 0
	v_mov_b32_e32 v3, v15
	s_delay_alu instid0(VALU_DEP_3) | instskip(NEXT) | instid1(VALU_DEP_2)
	v_mov_b32_e32 v9, v2
	v_mad_co_u64_u32 v[10:11], null, s9, v18, v[3:4]
	s_delay_alu instid0(VALU_DEP_4) | instskip(NEXT) | instid1(VALU_DEP_3)
	v_mov_b32_e32 v2, v17
	v_lshlrev_b64_e32 v[8:9], 4, v[8:9]
	s_delay_alu instid0(VALU_DEP_2) | instskip(SKIP_2) | instid1(VALU_DEP_4)
	v_mad_co_u64_u32 v[2:3], null, s9, v19, v[2:3]
	v_or_b32_e32 v3, 0x400, v68
	v_mov_b32_e32 v15, v10
	v_add_co_u32 v8, s1, v50, v8
	s_wait_alu 0xf1ff
	v_add_co_ci_u32_e64 v9, s1, v51, v9, s1
	v_mad_co_u64_u32 v[18:19], null, s8, v3, 0
	v_lshlrev_b64_e32 v[10:11], 4, v[14:15]
	v_mov_b32_e32 v17, v2
	s_clause 0x1
	global_load_b128 v[32:35], v[0:1], off
	global_load_b128 v[12:15], v[8:9], off
	v_mov_b32_e32 v2, v19
	v_add_co_u32 v0, s1, v50, v10
	s_wait_alu 0xf1ff
	v_add_co_ci_u32_e64 v1, s1, v51, v11, s1
	v_lshlrev_b64_e32 v[8:9], 4, v[16:17]
	v_mad_co_u64_u32 v[2:3], null, s9, v3, v[2:3]
	v_mad_co_u64_u32 v[10:11], null, s8, v20, 0
	;; [unrolled: 1-line block ×3, first 2 shown]
	s_delay_alu instid0(VALU_DEP_4) | instskip(NEXT) | instid1(VALU_DEP_4)
	v_add_co_u32 v8, s1, v50, v8
	v_mov_b32_e32 v19, v2
	s_wait_alu 0xf1ff
	v_add_co_ci_u32_e64 v9, s1, v51, v9, s1
	s_delay_alu instid0(VALU_DEP_4) | instskip(NEXT) | instid1(VALU_DEP_1)
	v_dual_mov_b32 v2, v11 :: v_dual_mov_b32 v3, v17
	v_mad_co_u64_u32 v[30:31], null, s9, v20, v[2:3]
	v_mad_co_u64_u32 v[2:3], null, s9, v21, v[3:4]
	s_clause 0x1
	global_load_b128 v[20:23], v[0:1], off
	global_load_b128 v[24:27], v[8:9], off
	v_mov_b32_e32 v0, v29
	v_lshlrev_b64_e32 v[8:9], 4, v[18:19]
	v_mov_b32_e32 v11, v30
	s_delay_alu instid0(VALU_DEP_3)
	v_mad_co_u64_u32 v[0:1], null, s9, v52, v[0:1]
	v_mov_b32_e32 v17, v2
	v_mov_b32_e32 v1, v49
	v_add_co_u32 v2, s1, v50, v8
	s_wait_alu 0xf1ff
	v_add_co_ci_u32_e64 v3, s1, v51, v9, s1
	v_lshlrev_b64_e32 v[8:9], 4, v[10:11]
	s_delay_alu instid0(VALU_DEP_3) | instskip(SKIP_2) | instid1(VALU_DEP_4)
	v_mad_co_u64_u32 v[10:11], null, s9, v53, v[1:2]
	v_lshlrev_b64_e32 v[16:17], 4, v[16:17]
	v_mov_b32_e32 v29, v0
	v_add_co_u32 v0, s1, v50, v8
	s_wait_alu 0xf1ff
	v_add_co_ci_u32_e64 v1, s1, v51, v9, s1
	v_mov_b32_e32 v49, v10
	v_lshlrev_b64_e32 v[8:9], 4, v[28:29]
	v_add_co_u32 v10, s1, v50, v16
	s_wait_alu 0xf1ff
	v_add_co_ci_u32_e64 v11, s1, v51, v17, s1
	v_lshlrev_b64_e32 v[16:17], 4, v[48:49]
	s_delay_alu instid0(VALU_DEP_4) | instskip(SKIP_2) | instid1(VALU_DEP_3)
	v_add_co_u32 v8, s1, v50, v8
	s_wait_alu 0xf1ff
	v_add_co_ci_u32_e64 v9, s1, v51, v9, s1
	v_add_co_u32 v52, s1, v50, v16
	s_wait_alu 0xf1ff
	v_add_co_ci_u32_e64 v53, s1, v51, v17, s1
	s_clause 0x4
	global_load_b128 v[48:51], v[2:3], off
	global_load_b128 v[28:31], v[0:1], off
	;; [unrolled: 1-line block ×5, first 2 shown]
.LBB0_11:
	s_wait_alu 0xfffe
	s_or_b32 exec_lo, exec_lo, s2
	s_and_saveexec_b32 s1, s0
	s_cbranch_execz .LBB0_13
; %bb.12:
	s_wait_loadcnt 0xb
	v_add_f64_e32 v[52:53], v[36:37], v[4:5]
	s_wait_loadcnt 0x0
	v_add_f64_e64 v[58:59], v[38:39], -v[2:3]
	v_add_f64_e64 v[54:55], v[42:43], -v[18:19]
	;; [unrolled: 1-line block ×6, first 2 shown]
	s_mov_b32 s22, 0x2ef20147
	s_mov_b32 s26, 0x24c2f84
	;; [unrolled: 1-line block ×8, first 2 shown]
	v_add_f64_e32 v[66:67], v[36:37], v[0:1]
	s_mov_b32 s21, 0x3fefc445
	s_mov_b32 s25, 0x3fea55e2
	;; [unrolled: 1-line block ×6, first 2 shown]
	s_wait_alu 0xfffe
	s_mov_b32 s30, s24
	s_mov_b32 s34, s20
	;; [unrolled: 1-line block ×10, first 2 shown]
	v_add_f64_e32 v[92:93], v[44:45], v[8:9]
	s_mov_b32 s16, 0xebaa3ed8
	s_mov_b32 s17, 0x3fbedb7d
	;; [unrolled: 1-line block ×5, first 2 shown]
	v_add_f64_e32 v[52:53], v[44:45], v[52:53]
	v_mul_f64_e32 v[76:77], s[28:29], v[58:59]
	v_mul_f64_e32 v[80:81], s[26:27], v[58:59]
	;; [unrolled: 1-line block ×9, first 2 shown]
	s_mov_b32 s3, 0xbfddbe06
	v_mul_f64_e32 v[90:91], s[30:31], v[58:59]
	s_wait_alu 0xfffe
	v_mul_f64_e32 v[58:59], s[2:3], v[58:59]
	s_mov_b32 s2, 0x1ea71119
	v_mul_f64_e32 v[94:95], s[20:21], v[56:57]
	v_mul_f64_e32 v[96:97], s[36:37], v[56:57]
	;; [unrolled: 1-line block ×5, first 2 shown]
	s_mov_b32 s3, 0x3fe22d96
	s_mov_b32 s38, s22
	v_mul_f64_e32 v[114:115], s[26:27], v[54:55]
	v_mul_f64_e32 v[116:117], s[30:31], v[54:55]
	;; [unrolled: 1-line block ×5, first 2 shown]
	s_mov_b32 s39, 0x3fcea1e5
	s_mov_b32 s38, s28
	v_mul_f64_e32 v[136:137], s[34:35], v[62:63]
	s_wait_alu 0xfffe
	v_mul_f64_e32 v[134:135], s[38:39], v[62:63]
	v_mul_f64_e32 v[138:139], s[36:37], v[62:63]
	v_add_f64_e32 v[52:53], v[40:41], v[52:53]
	v_fma_f64 v[102:103], v[66:67], s[6:7], v[76:77]
	v_fma_f64 v[76:77], v[66:67], s[6:7], -v[76:77]
	v_fma_f64 v[104:105], v[66:67], s[14:15], v[80:81]
	v_fma_f64 v[80:81], v[66:67], s[14:15], -v[80:81]
	;; [unrolled: 2-line block ×6, first 2 shown]
	v_fma_f64 v[112:113], v[66:67], s[18:19], -v[58:59]
	v_fma_f64 v[58:59], v[66:67], s[18:19], v[58:59]
	v_add_f64_e32 v[66:67], v[16:17], v[40:41]
	v_fma_f64 v[124:125], v[92:93], s[16:17], v[94:95]
	v_fma_f64 v[94:95], v[92:93], s[16:17], -v[94:95]
	v_fma_f64 v[126:127], v[92:93], s[14:15], v[96:97]
	v_fma_f64 v[96:97], v[92:93], s[14:15], -v[96:97]
	;; [unrolled: 2-line block ×5, first 2 shown]
	v_add_f64_e32 v[52:53], v[32:33], v[52:53]
	v_add_f64_e32 v[92:93], v[102:103], v[4:5]
	;; [unrolled: 1-line block ×14, first 2 shown]
	v_mul_f64_e32 v[112:113], s[24:25], v[62:63]
	v_mul_f64_e32 v[62:63], s[22:23], v[62:63]
	v_fma_f64 v[140:141], v[66:67], s[14:15], v[114:115]
	v_fma_f64 v[114:115], v[66:67], s[14:15], -v[114:115]
	v_fma_f64 v[142:143], v[66:67], s[2:3], v[116:117]
	v_fma_f64 v[116:117], v[66:67], s[2:3], -v[116:117]
	;; [unrolled: 2-line block ×6, first 2 shown]
	v_add_f64_e32 v[52:53], v[12:13], v[52:53]
	v_add_f64_e32 v[66:67], v[122:123], v[92:93]
	;; [unrolled: 1-line block ×7, first 2 shown]
	v_mul_f64_e32 v[102:103], s[38:39], v[60:61]
	v_mul_f64_e32 v[104:105], s[30:31], v[60:61]
	v_add_f64_e32 v[94:95], v[128:129], v[106:107]
	v_add_f64_e32 v[88:89], v[98:99], v[88:89]
	;; [unrolled: 1-line block ×7, first 2 shown]
	v_mul_f64_e32 v[100:101], s[22:23], v[60:61]
	v_fma_f64 v[108:109], v[58:59], s[2:3], v[112:113]
	v_fma_f64 v[110:111], v[58:59], s[2:3], -v[112:113]
	v_fma_f64 v[112:113], v[58:59], s[6:7], v[134:135]
	v_fma_f64 v[122:123], v[58:59], s[6:7], -v[134:135]
	;; [unrolled: 2-line block ×6, first 2 shown]
	v_mul_f64_e32 v[106:107], s[20:21], v[60:61]
	v_mul_f64_e32 v[60:61], s[26:27], v[60:61]
	v_add_f64_e32 v[52:53], v[20:21], v[52:53]
	v_add_f64_e32 v[62:63], v[140:141], v[66:67]
	;; [unrolled: 1-line block ×7, first 2 shown]
	v_mul_f64_e32 v[114:115], s[24:25], v[64:65]
	v_mul_f64_e32 v[116:117], s[26:27], v[64:65]
	v_add_f64_e32 v[84:85], v[146:147], v[94:95]
	v_add_f64_e32 v[88:89], v[118:119], v[88:89]
	;; [unrolled: 1-line block ×7, first 2 shown]
	v_mul_f64_e32 v[94:95], s[20:21], v[64:65]
	v_mul_f64_e32 v[96:97], s[22:23], v[64:65]
	;; [unrolled: 1-line block ×3, first 2 shown]
	v_fma_f64 v[118:119], v[98:99], s[12:13], v[100:101]
	v_fma_f64 v[100:101], v[98:99], s[12:13], -v[100:101]
	v_fma_f64 v[120:121], v[98:99], s[18:19], v[78:79]
	v_fma_f64 v[78:79], v[98:99], s[18:19], -v[78:79]
	;; [unrolled: 2-line block ×6, first 2 shown]
	v_add_f64_e32 v[52:53], v[24:25], v[52:53]
	v_add_f64_e32 v[62:63], v[108:109], v[62:63]
	;; [unrolled: 1-line block ×13, first 2 shown]
	v_fma_f64 v[98:99], v[56:57], s[2:3], v[114:115]
	v_fma_f64 v[58:59], v[56:57], s[16:17], v[94:95]
	v_fma_f64 v[92:93], v[56:57], s[16:17], -v[94:95]
	v_fma_f64 v[94:95], v[56:57], s[12:13], v[96:97]
	v_fma_f64 v[96:97], v[56:57], s[12:13], -v[96:97]
	v_fma_f64 v[108:109], v[56:57], s[2:3], -v[114:115]
	v_fma_f64 v[110:111], v[56:57], s[14:15], v[116:117]
	v_fma_f64 v[112:113], v[56:57], s[14:15], -v[116:117]
	v_fma_f64 v[114:115], v[56:57], s[18:19], v[86:87]
	;; [unrolled: 2-line block ×3, first 2 shown]
	v_fma_f64 v[56:57], v[56:57], s[6:7], -v[64:65]
	v_add_f64_e32 v[52:53], v[48:49], v[52:53]
	v_add_f64_e32 v[62:63], v[118:119], v[62:63]
	;; [unrolled: 1-line block ×26, first 2 shown]
	v_mad_u32_u24 v56, 0x68, v68, 0
	v_add_f64_e32 v[52:53], v[16:17], v[52:53]
	s_delay_alu instid0(VALU_DEP_1) | instskip(NEXT) | instid1(VALU_DEP_1)
	v_add_f64_e32 v[52:53], v[8:9], v[52:53]
	v_add_f64_e32 v[52:53], v[0:1], v[52:53]
	ds_store_2addr_b64 v56, v[72:73], v[64:65] offset0:4 offset1:5
	ds_store_2addr_b64 v56, v[60:61], v[58:59] offset0:6 offset1:7
	;; [unrolled: 1-line block ×5, first 2 shown]
	ds_store_2addr_b64 v56, v[52:53], v[54:55] offset1:1
	ds_store_b64 v56, v[4:5] offset:96
.LBB0_13:
	s_wait_alu 0xfffe
	s_or_b32 exec_lo, exec_lo, s1
	v_lshl_add_u32 v72, v68, 3, 0
	global_wb scope:SCOPE_SE
	s_wait_loadcnt_dscnt 0x0
	s_barrier_signal -1
	s_barrier_wait -1
	global_inv scope:SCOPE_SE
	v_add_nc_u32_e32 v73, 0x1a00, v72
	v_add_nc_u32_e32 v74, 0xc00, v72
	;; [unrolled: 1-line block ×3, first 2 shown]
	ds_load_2addr_b64 v[52:55], v72 offset1:208
	ds_load_2addr_b64 v[60:63], v73 offset1:208
	ds_load_2addr_b64 v[56:59], v74 offset0:32 offset1:240
	ds_load_2addr_b64 v[64:67], v75 offset0:32 offset1:240
	global_wb scope:SCOPE_SE
	s_wait_dscnt 0x0
	s_barrier_signal -1
	s_barrier_wait -1
	global_inv scope:SCOPE_SE
	s_and_saveexec_b32 s33, s0
	s_cbranch_execz .LBB0_15
; %bb.14:
	v_add_f64_e32 v[4:5], v[38:39], v[6:7]
	v_add_f64_e64 v[0:1], v[36:37], -v[0:1]
	s_mov_b32 s28, 0x42a4c3d2
	s_mov_b32 s14, 0x2ef20147
	;; [unrolled: 1-line block ×10, first 2 shown]
	v_add_f64_e64 v[8:9], v[44:45], -v[8:9]
	v_add_f64_e32 v[36:37], v[38:39], v[2:3]
	s_mov_b32 s30, 0x66966769
	s_mov_b32 s31, 0xbfefc445
	;; [unrolled: 1-line block ×12, first 2 shown]
	s_wait_alu 0xfffe
	s_mov_b32 s34, s20
	s_mov_b32 s26, s30
	s_mov_b32 s22, 0x93053d00
	s_mov_b32 s23, 0xbfef11f4
	s_mov_b32 s2, 0xebaa3ed8
	v_add_f64_e64 v[16:17], v[40:41], -v[16:17]
	v_add_f64_e32 v[40:41], v[46:47], v[10:11]
	s_mov_b32 s3, 0x3fbedb7d
	s_mov_b32 s37, 0x3fedeba7
	s_mov_b32 s36, s14
	v_add_f64_e64 v[28:29], v[32:33], -v[28:29]
	s_mov_b32 s39, 0x3fcea1e5
	v_add_f64_e32 v[4:5], v[46:47], v[4:5]
	v_mul_f64_e32 v[38:39], s[12:13], v[0:1]
	v_mul_f64_e32 v[44:45], s[28:29], v[0:1]
	;; [unrolled: 1-line block ×6, first 2 shown]
	s_mov_b32 s13, 0x3fddbe06
	s_mov_b32 s38, s24
	v_add_f64_e64 v[12:13], v[12:13], -v[48:49]
	v_add_f64_e64 v[20:21], v[20:21], -v[24:25]
	v_mul_f64_e32 v[46:47], s[28:29], v[8:9]
	v_mul_f64_e32 v[82:83], s[14:15], v[8:9]
	;; [unrolled: 1-line block ×3, first 2 shown]
	s_wait_alu 0xfffe
	v_mul_f64_e32 v[86:87], s[34:35], v[8:9]
	v_mul_f64_e32 v[88:89], s[26:27], v[8:9]
	;; [unrolled: 1-line block ×7, first 2 shown]
	s_mov_b32 s37, 0x3fea55e2
	s_mov_b32 s36, s28
	v_mul_f64_e32 v[48:49], s[34:35], v[28:29]
	v_add_f64_e32 v[4:5], v[42:43], v[4:5]
	v_fma_f64 v[90:91], v[36:37], s[0:1], v[38:39]
	v_fma_f64 v[92:93], v[36:37], s[6:7], v[44:45]
	v_fma_f64 v[44:45], v[36:37], s[6:7], -v[44:45]
	v_fma_f64 v[94:95], v[36:37], s[16:17], v[76:77]
	v_fma_f64 v[76:77], v[36:37], s[16:17], -v[76:77]
	v_fma_f64 v[96:97], v[36:37], s[18:19], v[78:79]
	v_fma_f64 v[98:99], v[36:37], s[22:23], v[80:81]
	v_fma_f64 v[80:81], v[36:37], s[22:23], -v[80:81]
	v_fma_f64 v[78:79], v[36:37], s[18:19], -v[78:79]
	;; [unrolled: 1-line block ×3, first 2 shown]
	v_fma_f64 v[0:1], v[36:37], s[2:3], v[0:1]
	v_fma_f64 v[36:37], v[36:37], s[0:1], -v[38:39]
	v_add_f64_e32 v[38:39], v[18:19], v[42:43]
	v_mul_f64_e32 v[42:43], s[24:25], v[16:17]
	v_mul_f64_e32 v[16:17], s[12:13], v[16:17]
	v_fma_f64 v[108:109], v[40:41], s[6:7], v[46:47]
	v_fma_f64 v[46:47], v[40:41], s[6:7], -v[46:47]
	v_fma_f64 v[110:111], v[40:41], s[16:17], v[82:83]
	v_fma_f64 v[82:83], v[40:41], s[16:17], -v[82:83]
	;; [unrolled: 2-line block ×6, first 2 shown]
	v_mul_f64_e32 v[120:121], s[38:39], v[28:29]
	s_wait_alu 0xfffe
	v_mul_f64_e32 v[122:123], s[36:37], v[28:29]
	v_mul_f64_e32 v[24:25], s[20:21], v[12:13]
	v_add_f64_e32 v[4:5], v[34:35], v[4:5]
	v_add_f64_e32 v[40:41], v[90:91], v[6:7]
	;; [unrolled: 1-line block ×14, first 2 shown]
	v_mul_f64_e32 v[36:37], s[14:15], v[28:29]
	v_mul_f64_e32 v[100:101], s[30:31], v[28:29]
	;; [unrolled: 1-line block ×3, first 2 shown]
	v_fma_f64 v[124:125], v[38:39], s[2:3], v[32:33]
	v_fma_f64 v[32:33], v[38:39], s[2:3], -v[32:33]
	v_fma_f64 v[126:127], v[38:39], s[22:23], v[42:43]
	v_fma_f64 v[42:43], v[38:39], s[22:23], -v[42:43]
	;; [unrolled: 2-line block ×6, first 2 shown]
	v_add_f64_e32 v[4:5], v[14:15], v[4:5]
	v_add_f64_e32 v[38:39], v[108:109], v[40:41]
	;; [unrolled: 1-line block ×14, first 2 shown]
	v_mul_f64_e32 v[46:47], s[26:27], v[12:13]
	v_mul_f64_e32 v[84:85], s[38:39], v[12:13]
	;; [unrolled: 1-line block ×3, first 2 shown]
	v_fma_f64 v[92:93], v[34:35], s[16:17], v[36:37]
	v_fma_f64 v[36:37], v[34:35], s[16:17], -v[36:37]
	v_fma_f64 v[94:95], v[34:35], s[18:19], v[48:49]
	v_fma_f64 v[48:49], v[34:35], s[18:19], -v[48:49]
	;; [unrolled: 2-line block ×6, first 2 shown]
	v_add_f64_e32 v[4:5], v[22:23], v[4:5]
	v_add_f64_e32 v[34:35], v[124:125], v[38:39]
	;; [unrolled: 1-line block ×14, first 2 shown]
	v_mul_f64_e32 v[32:33], s[36:37], v[20:21]
	v_mul_f64_e32 v[82:83], s[14:15], v[20:21]
	;; [unrolled: 1-line block ×3, first 2 shown]
	v_fma_f64 v[90:91], v[14:15], s[18:19], v[24:25]
	v_fma_f64 v[24:25], v[14:15], s[18:19], -v[24:25]
	v_fma_f64 v[102:103], v[14:15], s[2:3], v[46:47]
	v_fma_f64 v[46:47], v[14:15], s[2:3], -v[46:47]
	;; [unrolled: 2-line block ×4, first 2 shown]
	v_add_f64_e32 v[4:5], v[26:27], v[4:5]
	v_mul_f64_e32 v[26:27], s[24:25], v[20:21]
	v_add_f64_e32 v[16:17], v[98:99], v[16:17]
	v_add_f64_e32 v[8:9], v[112:113], v[8:9]
	;; [unrolled: 1-line block ×5, first 2 shown]
	v_fma_f64 v[80:81], v[22:23], s[16:17], -v[82:83]
	v_add_f64_e32 v[4:5], v[50:51], v[4:5]
	v_mul_f64_e32 v[50:51], s[28:29], v[12:13]
	v_mul_f64_e32 v[12:13], s[12:13], v[12:13]
	v_add_f64_e32 v[16:17], v[84:85], v[16:17]
	v_add_f64_e32 v[8:9], v[88:89], v[8:9]
	;; [unrolled: 1-line block ×4, first 2 shown]
	v_mul_f64_e32 v[30:31], s[20:21], v[20:21]
	v_mul_f64_e32 v[20:21], s[12:13], v[20:21]
	v_fma_f64 v[104:105], v[14:15], s[6:7], v[50:51]
	v_fma_f64 v[50:51], v[14:15], s[6:7], -v[50:51]
	v_fma_f64 v[118:119], v[14:15], s[0:1], v[12:13]
	v_fma_f64 v[12:13], v[14:15], s[0:1], -v[12:13]
	v_add_f64_e32 v[14:15], v[92:93], v[34:35]
	v_add_f64_e32 v[34:35], v[94:95], v[38:39]
	;; [unrolled: 1-line block ×7, first 2 shown]
	v_fma_f64 v[76:77], v[22:23], s[6:7], v[32:33]
	v_fma_f64 v[32:33], v[22:23], s[6:7], -v[32:33]
	v_fma_f64 v[78:79], v[22:23], s[16:17], v[82:83]
	v_fma_f64 v[82:83], v[22:23], s[2:3], v[86:87]
	v_fma_f64 v[86:87], v[22:23], s[2:3], -v[86:87]
	v_add_f64_e32 v[4:5], v[18:19], v[4:5]
	v_fma_f64 v[18:19], v[22:23], s[22:23], v[26:27]
	v_fma_f64 v[26:27], v[22:23], s[22:23], -v[26:27]
	v_fma_f64 v[36:37], v[22:23], s[18:19], v[30:31]
	v_fma_f64 v[30:31], v[22:23], s[18:19], -v[30:31]
	;; [unrolled: 2-line block ×3, first 2 shown]
	v_add_f64_e32 v[14:15], v[90:91], v[14:15]
	v_add_f64_e32 v[22:23], v[102:103], v[34:35]
	;; [unrolled: 1-line block ×23, first 2 shown]
	v_mad_u32_u24 v6, 0x60, v68, v72
	ds_store_2addr_b64 v6, v[20:21], v[22:23] offset0:4 offset1:5
	ds_store_2addr_b64 v6, v[24:25], v[8:9] offset0:6 offset1:7
	;; [unrolled: 1-line block ×4, first 2 shown]
	ds_store_2addr_b64 v6, v[2:3], v[10:11] offset1:1
	ds_store_2addr_b64 v6, v[14:15], v[0:1] offset0:2 offset1:3
	ds_store_b64 v6, v[4:5] offset:96
.LBB0_15:
	s_or_b32 exec_lo, exec_lo, s33
	v_add_nc_u32_e32 v20, 0xd0, v68
	v_add_nc_u32_e32 v18, 0x1a0, v68
	;; [unrolled: 1-line block ×3, first 2 shown]
	v_and_b32_e32 v0, 0xff, v68
	global_wb scope:SCOPE_SE
	s_wait_dscnt 0x0
	v_and_b32_e32 v1, 0xffff, v20
	v_and_b32_e32 v2, 0xffff, v18
	;; [unrolled: 1-line block ×3, first 2 shown]
	v_mul_lo_u16 v69, 0x4f, v0
	s_barrier_signal -1
	v_mul_u32_u24_e32 v76, 0x4ec5, v1
	v_mul_u32_u24_e32 v1, 0x4ec5, v2
	;; [unrolled: 1-line block ×3, first 2 shown]
	v_lshrrev_b16 v37, 10, v69
	s_barrier_wait -1
	v_lshrrev_b32_e32 v38, 18, v76
	v_lshrrev_b32_e32 v39, 18, v1
	;; [unrolled: 1-line block ×3, first 2 shown]
	v_mul_lo_u16 v2, v37, 13
	global_inv scope:SCOPE_SE
	v_mul_lo_u16 v3, v38, 13
	v_mul_lo_u16 v4, v39, 13
	;; [unrolled: 1-line block ×3, first 2 shown]
	v_sub_nc_u16 v2, v68, v2
	v_mul_u32_u24_e32 v49, 0xd0, v38
	v_sub_nc_u16 v3, v20, v3
	v_sub_nc_u16 v4, v18, v4
	v_sub_nc_u16 v5, v19, v5
	v_and_b32_e32 v41, 0xff, v2
	v_mul_u32_u24_e32 v50, 0xd0, v39
	v_and_b32_e32 v45, 0xffff, v3
	v_and_b32_e32 v46, 0xffff, v4
	;; [unrolled: 1-line block ×3, first 2 shown]
	v_lshlrev_b32_e32 v2, 4, v41
	v_mul_u32_u24_e32 v51, 0xd0, v40
	v_lshlrev_b32_e32 v6, 4, v45
	v_lshlrev_b32_e32 v10, 4, v46
	;; [unrolled: 1-line block ×3, first 2 shown]
	v_lshrrev_b32_e32 v78, 20, v76
	s_clause 0x3
	global_load_b128 v[2:5], v2, s[4:5]
	global_load_b128 v[6:9], v6, s[4:5]
	;; [unrolled: 1-line block ×4, first 2 shown]
	ds_load_2addr_b64 v[21:24], v73 offset1:208
	ds_load_2addr_b64 v[25:28], v75 offset0:32 offset1:240
	s_wait_loadcnt_dscnt 0x301
	v_mul_f64_e32 v[29:30], v[21:22], v[4:5]
	v_mul_f64_e32 v[4:5], v[60:61], v[4:5]
	s_wait_loadcnt 0x2
	v_mul_f64_e32 v[31:32], v[23:24], v[8:9]
	v_mul_f64_e32 v[8:9], v[62:63], v[8:9]
	s_wait_loadcnt_dscnt 0x100
	v_mul_f64_e32 v[33:34], v[25:26], v[12:13]
	v_mul_f64_e32 v[12:13], v[64:65], v[12:13]
	s_wait_loadcnt 0x0
	v_mul_f64_e32 v[35:36], v[27:28], v[16:17]
	v_mul_f64_e32 v[16:17], v[66:67], v[16:17]
	v_fma_f64 v[29:30], v[60:61], v[2:3], -v[29:30]
	v_fma_f64 v[21:22], v[21:22], v[2:3], v[4:5]
	v_fma_f64 v[31:32], v[62:63], v[6:7], -v[31:32]
	v_fma_f64 v[23:24], v[23:24], v[6:7], v[8:9]
	;; [unrolled: 2-line block ×4, first 2 shown]
	ds_load_2addr_b64 v[2:5], v72 offset1:208
	ds_load_2addr_b64 v[6:9], v74 offset0:32 offset1:240
	v_lshrrev_b16 v60, 11, v69
	v_lshrrev_b32_e32 v61, 19, v76
	v_lshrrev_b32_e32 v62, 19, v1
	;; [unrolled: 1-line block ×3, first 2 shown]
	v_lshrrev_b16 v67, 12, v69
	v_mov_b32_e32 v69, 0
	v_mul_lo_u16 v38, v61, 26
	v_mul_lo_u16 v39, v62, 26
	;; [unrolled: 1-line block ×3, first 2 shown]
	global_wb scope:SCOPE_SE
	s_wait_dscnt 0x0
	s_barrier_signal -1
	s_barrier_wait -1
	global_inv scope:SCOPE_SE
	v_lshrrev_b32_e32 v1, 22, v1
	v_add_f64_e64 v[14:15], v[52:53], -v[29:30]
	v_add_f64_e64 v[21:22], v[2:3], -v[21:22]
	;; [unrolled: 1-line block ×8, first 2 shown]
	v_and_b32_e32 v10, 0xffff, v37
	v_mul_lo_u16 v37, v60, 26
	s_delay_alu instid0(VALU_DEP_2) | instskip(NEXT) | instid1(VALU_DEP_2)
	v_mul_u32_u24_e32 v48, 0xd0, v10
	v_sub_nc_u16 v37, v68, v37
	v_fma_f64 v[10:11], v[52:53], 2.0, -v[14:15]
	s_delay_alu instid0(VALU_DEP_2)
	v_and_b32_e32 v53, 0xff, v37
	v_sub_nc_u16 v52, v20, v38
	v_fma_f64 v[37:38], v[2:3], 2.0, -v[21:22]
	v_fma_f64 v[12:13], v[54:55], 2.0, -v[16:17]
	v_sub_nc_u16 v54, v18, v39
	v_fma_f64 v[39:40], v[4:5], 2.0, -v[23:24]
	v_fma_f64 v[33:34], v[56:57], 2.0, -v[25:26]
	v_sub_nc_u16 v55, v19, v42
	v_lshlrev_b32_e32 v56, 3, v41
	v_fma_f64 v[41:42], v[6:7], 2.0, -v[29:30]
	v_fma_f64 v[35:36], v[58:59], 2.0, -v[27:28]
	;; [unrolled: 1-line block ×3, first 2 shown]
	v_and_b32_e32 v58, 0xffff, v52
	v_lshlrev_b32_e32 v2, 3, v45
	v_and_b32_e32 v54, 0xffff, v54
	v_lshlrev_b32_e32 v3, 3, v46
	;; [unrolled: 2-line block ×3, first 2 shown]
	v_lshlrev_b32_e32 v57, 4, v53
	v_add3_u32 v48, 0, v48, v56
	v_lshlrev_b32_e32 v45, 4, v58
	v_add3_u32 v49, 0, v49, v2
	;; [unrolled: 2-line block ×4, first 2 shown]
	ds_store_2addr_b64 v48, v[10:11], v[14:15] offset1:13
	ds_store_2addr_b64 v49, v[12:13], v[16:17] offset1:13
	;; [unrolled: 1-line block ×4, first 2 shown]
	global_wb scope:SCOPE_SE
	s_wait_dscnt 0x0
	s_barrier_signal -1
	s_barrier_wait -1
	global_inv scope:SCOPE_SE
	ds_load_2addr_b64 v[2:5], v72 offset1:208
	ds_load_2addr_b64 v[6:9], v73 offset1:208
	ds_load_2addr_b64 v[10:13], v74 offset0:32 offset1:240
	ds_load_2addr_b64 v[14:17], v75 offset0:32 offset1:240
	global_wb scope:SCOPE_SE
	s_wait_dscnt 0x0
	s_barrier_signal -1
	s_barrier_wait -1
	global_inv scope:SCOPE_SE
	ds_store_2addr_b64 v48, v[37:38], v[21:22] offset1:13
	ds_store_2addr_b64 v49, v[39:40], v[23:24] offset1:13
	;; [unrolled: 1-line block ×4, first 2 shown]
	global_wb scope:SCOPE_SE
	s_wait_dscnt 0x0
	s_barrier_signal -1
	s_barrier_wait -1
	global_inv scope:SCOPE_SE
	s_clause 0x3
	global_load_b128 v[21:24], v57, s[4:5] offset:208
	global_load_b128 v[25:28], v45, s[4:5] offset:208
	global_load_b128 v[29:32], v46, s[4:5] offset:208
	global_load_b128 v[33:36], v47, s[4:5] offset:208
	ds_load_2addr_b64 v[37:40], v73 offset1:208
	ds_load_2addr_b64 v[41:44], v75 offset0:32 offset1:240
	s_wait_loadcnt_dscnt 0x301
	v_mul_f64_e32 v[45:46], v[37:38], v[23:24]
	v_mul_f64_e32 v[23:24], v[6:7], v[23:24]
	s_wait_loadcnt 0x2
	v_mul_f64_e32 v[47:48], v[39:40], v[27:28]
	v_mul_f64_e32 v[27:28], v[8:9], v[27:28]
	s_wait_loadcnt_dscnt 0x100
	v_mul_f64_e32 v[49:50], v[41:42], v[31:32]
	v_mul_f64_e32 v[31:32], v[14:15], v[31:32]
	s_wait_loadcnt 0x0
	v_mul_f64_e32 v[51:52], v[43:44], v[35:36]
	v_mul_f64_e32 v[35:36], v[16:17], v[35:36]
	v_fma_f64 v[45:46], v[6:7], v[21:22], -v[45:46]
	v_fma_f64 v[21:22], v[37:38], v[21:22], v[23:24]
	v_fma_f64 v[47:48], v[8:9], v[25:26], -v[47:48]
	v_fma_f64 v[23:24], v[39:40], v[25:26], v[27:28]
	;; [unrolled: 2-line block ×4, first 2 shown]
	ds_load_2addr_b64 v[6:9], v72 offset1:208
	ds_load_2addr_b64 v[14:17], v74 offset0:32 offset1:240
	v_mul_lo_u16 v37, v67, 52
	v_and_b32_e32 v38, 0xffff, v60
	v_mul_lo_u16 v39, v78, 52
	global_wb scope:SCOPE_SE
	s_wait_dscnt 0x0
	s_barrier_signal -1
	v_sub_nc_u16 v37, v68, v37
	s_barrier_wait -1
	global_inv scope:SCOPE_SE
	v_and_b32_e32 v79, 0xff, v37
	v_add_f64_e64 v[29:30], v[2:3], -v[45:46]
	v_add_f64_e64 v[21:22], v[6:7], -v[21:22]
	;; [unrolled: 1-line block ×8, first 2 shown]
	v_mul_u32_u24_e32 v45, 0x1a0, v38
	v_sub_nc_u16 v47, v20, v39
	v_lshlrev_b32_e32 v48, 3, v53
	v_mul_u32_u24_e32 v46, 0x1a0, v61
	s_delay_alu instid0(VALU_DEP_3) | instskip(NEXT) | instid1(VALU_DEP_3)
	v_and_b32_e32 v80, 0xffff, v47
	v_add3_u32 v45, 0, v45, v48
	v_fma_f64 v[2:3], v[2:3], 2.0, -v[29:30]
	v_fma_f64 v[37:38], v[6:7], 2.0, -v[21:22]
	v_fma_f64 v[4:5], v[4:5], 2.0, -v[31:32]
	v_fma_f64 v[39:40], v[8:9], 2.0, -v[23:24]
	v_fma_f64 v[10:11], v[10:11], 2.0, -v[33:34]
	v_fma_f64 v[41:42], v[14:15], 2.0, -v[25:26]
	v_fma_f64 v[12:13], v[12:13], 2.0, -v[35:36]
	v_fma_f64 v[43:44], v[16:17], 2.0, -v[27:28]
	v_mul_u32_u24_e32 v8, 3, v79
	v_lshlrev_b32_e32 v9, 3, v58
	v_mul_u32_u24_e32 v6, 0x1a0, v62
	v_lshlrev_b32_e32 v14, 3, v54
	;; [unrolled: 2-line block ×4, first 2 shown]
	v_add3_u32 v46, 0, v46, v9
	v_add3_u32 v48, 0, v6, v14
	;; [unrolled: 1-line block ×3, first 2 shown]
	v_lshlrev_b32_e32 v50, 4, v16
	ds_store_2addr_b64 v45, v[2:3], v[29:30] offset1:26
	ds_store_2addr_b64 v46, v[4:5], v[31:32] offset1:26
	;; [unrolled: 1-line block ×4, first 2 shown]
	global_wb scope:SCOPE_SE
	s_wait_dscnt 0x0
	s_barrier_signal -1
	s_barrier_wait -1
	global_inv scope:SCOPE_SE
	ds_load_2addr_b64 v[2:5], v72 offset1:208
	ds_load_2addr_b64 v[6:9], v74 offset0:32 offset1:240
	ds_load_2addr_b64 v[10:13], v73 offset1:208
	ds_load_2addr_b64 v[14:17], v75 offset0:32 offset1:240
	global_wb scope:SCOPE_SE
	s_wait_dscnt 0x0
	s_barrier_signal -1
	s_barrier_wait -1
	global_inv scope:SCOPE_SE
	ds_store_2addr_b64 v45, v[37:38], v[21:22] offset1:26
	ds_store_2addr_b64 v46, v[39:40], v[23:24] offset1:26
	;; [unrolled: 1-line block ×4, first 2 shown]
	global_wb scope:SCOPE_SE
	s_wait_dscnt 0x0
	s_barrier_signal -1
	s_barrier_wait -1
	global_inv scope:SCOPE_SE
	s_clause 0x5
	global_load_b128 v[21:24], v47, s[4:5] offset:624
	global_load_b128 v[25:28], v47, s[4:5] offset:640
	;; [unrolled: 1-line block ×6, first 2 shown]
	ds_load_2addr_b64 v[45:48], v74 offset0:32 offset1:240
	ds_load_2addr_b64 v[49:52], v73 offset1:208
	ds_load_2addr_b64 v[53:56], v75 offset0:32 offset1:240
	s_wait_loadcnt_dscnt 0x502
	v_mul_f64_e32 v[57:58], v[45:46], v[23:24]
	s_wait_loadcnt_dscnt 0x401
	v_mul_f64_e32 v[59:60], v[49:50], v[27:28]
	;; [unrolled: 2-line block ×3, first 2 shown]
	v_mul_f64_e32 v[23:24], v[6:7], v[23:24]
	v_mul_f64_e32 v[27:28], v[10:11], v[27:28]
	;; [unrolled: 1-line block ×3, first 2 shown]
	s_wait_loadcnt 0x2
	v_mul_f64_e32 v[63:64], v[47:48], v[35:36]
	s_wait_loadcnt 0x1
	v_mul_f64_e32 v[65:66], v[51:52], v[39:40]
	;; [unrolled: 2-line block ×3, first 2 shown]
	v_mul_f64_e32 v[35:36], v[8:9], v[35:36]
	v_mul_f64_e32 v[39:40], v[12:13], v[39:40]
	;; [unrolled: 1-line block ×3, first 2 shown]
	v_fma_f64 v[57:58], v[6:7], v[21:22], -v[57:58]
	v_fma_f64 v[10:11], v[10:11], v[25:26], -v[59:60]
	;; [unrolled: 1-line block ×3, first 2 shown]
	v_fma_f64 v[21:22], v[45:46], v[21:22], v[23:24]
	v_fma_f64 v[23:24], v[49:50], v[25:26], v[27:28]
	;; [unrolled: 1-line block ×3, first 2 shown]
	v_fma_f64 v[59:60], v[8:9], v[33:34], -v[63:64]
	v_fma_f64 v[12:13], v[12:13], v[37:38], -v[65:66]
	;; [unrolled: 1-line block ×3, first 2 shown]
	v_fma_f64 v[27:28], v[47:48], v[33:34], v[35:36]
	v_fma_f64 v[29:30], v[51:52], v[37:38], v[39:40]
	;; [unrolled: 1-line block ×3, first 2 shown]
	ds_load_2addr_b64 v[6:9], v72 offset1:208
	global_wb scope:SCOPE_SE
	s_wait_dscnt 0x0
	s_barrier_signal -1
	s_barrier_wait -1
	global_inv scope:SCOPE_SE
	v_add_f64_e64 v[10:11], v[2:3], -v[10:11]
	v_add_f64_e64 v[14:15], v[57:58], -v[14:15]
	;; [unrolled: 1-line block ×8, first 2 shown]
	v_fma_f64 v[2:3], v[2:3], 2.0, -v[10:11]
	v_fma_f64 v[33:34], v[57:58], 2.0, -v[14:15]
	;; [unrolled: 1-line block ×4, first 2 shown]
	v_add_f64_e32 v[37:38], v[23:24], v[14:15]
	v_fma_f64 v[4:5], v[4:5], 2.0, -v[12:13]
	v_fma_f64 v[35:36], v[59:60], 2.0, -v[16:17]
	v_add_f64_e64 v[25:26], v[10:11], -v[25:26]
	v_fma_f64 v[8:9], v[8:9], 2.0, -v[29:30]
	v_fma_f64 v[27:28], v[27:28], 2.0, -v[31:32]
	v_add_f64_e64 v[31:32], v[12:13], -v[31:32]
	v_add_f64_e32 v[39:40], v[29:30], v[16:17]
	v_lshrrev_b32_e32 v14, 22, v0
	v_mul_lo_u16 v15, 0xd0, v1
	v_and_b32_e32 v16, 0xffff, v67
	v_lshlrev_b64_e32 v[0:1], 4, v[68:69]
	s_delay_alu instid0(VALU_DEP_4) | instskip(NEXT) | instid1(VALU_DEP_4)
	v_mul_lo_u16 v14, 0xd0, v14
	v_sub_nc_u16 v15, v18, v15
	s_delay_alu instid0(VALU_DEP_1) | instskip(NEXT) | instid1(VALU_DEP_1)
	v_and_b32_e32 v51, 0xffff, v15
	v_lshlrev_b32_e32 v46, 4, v51
	v_add_f64_e64 v[33:34], v[2:3], -v[33:34]
	v_add_f64_e64 v[21:22], v[6:7], -v[21:22]
	v_fma_f64 v[23:24], v[23:24], 2.0, -v[37:38]
	v_add_f64_e64 v[35:36], v[4:5], -v[35:36]
	v_fma_f64 v[10:11], v[10:11], 2.0, -v[25:26]
	;; [unrolled: 2-line block ×3, first 2 shown]
	v_fma_f64 v[29:30], v[29:30], 2.0, -v[39:40]
	v_fma_f64 v[2:3], v[2:3], 2.0, -v[33:34]
	;; [unrolled: 1-line block ×3, first 2 shown]
	v_sub_nc_u16 v6, v19, v14
	v_mul_u32_u24_e32 v7, 0x680, v16
	v_fma_f64 v[4:5], v[4:5], 2.0, -v[35:36]
	v_add_co_u32 v16, s0, s4, v0
	v_fma_f64 v[43:44], v[8:9], 2.0, -v[27:28]
	v_lshlrev_b32_e32 v9, 3, v79
	v_mul_u32_u24_e32 v8, 0x680, v78
	v_and_b32_e32 v52, 0xffff, v6
	v_lshlrev_b32_e32 v6, 3, v80
	s_wait_alu 0xf1ff
	v_add_co_ci_u32_e64 v17, s0, s5, v1, s0
	v_add3_u32 v45, 0, v7, v9
	v_lshlrev_b32_e32 v47, 4, v52
	v_add3_u32 v48, 0, v8, v6
	ds_store_2addr_b64 v45, v[33:34], v[25:26] offset0:104 offset1:156
	ds_store_2addr_b64 v45, v[2:3], v[10:11] offset1:52
	ds_store_2addr_b64 v48, v[4:5], v[12:13] offset1:52
	ds_store_2addr_b64 v48, v[35:36], v[31:32] offset0:104 offset1:156
	global_wb scope:SCOPE_SE
	s_wait_dscnt 0x0
	s_barrier_signal -1
	s_barrier_wait -1
	global_inv scope:SCOPE_SE
	ds_load_2addr_b64 v[0:3], v72 offset1:208
	ds_load_2addr_b64 v[4:7], v73 offset1:208
	ds_load_2addr_b64 v[8:11], v74 offset0:32 offset1:240
	ds_load_2addr_b64 v[12:15], v75 offset0:32 offset1:240
	global_wb scope:SCOPE_SE
	s_wait_dscnt 0x0
	s_barrier_signal -1
	s_barrier_wait -1
	global_inv scope:SCOPE_SE
	ds_store_2addr_b64 v45, v[41:42], v[23:24] offset1:52
	ds_store_2addr_b64 v45, v[21:22], v[37:38] offset0:104 offset1:156
	ds_store_2addr_b64 v48, v[43:44], v[29:30] offset1:52
	ds_store_2addr_b64 v48, v[27:28], v[39:40] offset0:104 offset1:156
	global_wb scope:SCOPE_SE
	s_wait_dscnt 0x0
	s_barrier_signal -1
	s_barrier_wait -1
	global_inv scope:SCOPE_SE
	s_clause 0x2
	global_load_b128 v[21:24], v[16:17], off offset:3120
	global_load_b128 v[25:28], v46, s[4:5] offset:3120
	global_load_b128 v[29:32], v47, s[4:5] offset:3120
	ds_load_2addr_b64 v[33:36], v73 offset1:208
	ds_load_2addr_b64 v[37:40], v75 offset0:32 offset1:240
	s_wait_loadcnt_dscnt 0x201
	v_mul_f64_e32 v[41:42], v[33:34], v[23:24]
	v_mul_f64_e32 v[49:50], v[4:5], v[23:24]
	;; [unrolled: 1-line block ×4, first 2 shown]
	s_wait_loadcnt_dscnt 0x100
	v_mul_f64_e32 v[45:46], v[37:38], v[27:28]
	v_mul_f64_e32 v[27:28], v[12:13], v[27:28]
	s_wait_loadcnt 0x0
	v_mul_f64_e32 v[47:48], v[39:40], v[31:32]
	v_mul_f64_e32 v[31:32], v[14:15], v[31:32]
	v_fma_f64 v[41:42], v[4:5], v[21:22], -v[41:42]
	v_fma_f64 v[33:34], v[33:34], v[21:22], v[49:50]
	v_fma_f64 v[43:44], v[6:7], v[21:22], -v[43:44]
	v_fma_f64 v[21:22], v[35:36], v[21:22], v[23:24]
	;; [unrolled: 2-line block ×4, first 2 shown]
	ds_load_2addr_b64 v[4:7], v72 offset1:208
	ds_load_2addr_b64 v[12:15], v74 offset0:32 offset1:240
	global_wb scope:SCOPE_SE
	s_wait_dscnt 0x0
	s_barrier_signal -1
	s_barrier_wait -1
	global_inv scope:SCOPE_SE
	v_add_f64_e64 v[27:28], v[0:1], -v[41:42]
	v_add_f64_e64 v[33:34], v[4:5], -v[33:34]
	v_add_f64_e64 v[29:30], v[2:3], -v[43:44]
	v_add_f64_e64 v[21:22], v[6:7], -v[21:22]
	v_add_f64_e64 v[31:32], v[8:9], -v[45:46]
	v_add_f64_e64 v[23:24], v[12:13], -v[23:24]
	v_add_f64_e64 v[35:36], v[10:11], -v[47:48]
	v_add_f64_e64 v[25:26], v[14:15], -v[25:26]
	v_fma_f64 v[0:1], v[0:1], 2.0, -v[27:28]
	v_fma_f64 v[37:38], v[4:5], 2.0, -v[33:34]
	;; [unrolled: 1-line block ×8, first 2 shown]
	v_lshl_add_u32 v4, v51, 3, 0
	v_lshl_add_u32 v5, v52, 3, 0
	s_delay_alu instid0(VALU_DEP_2) | instskip(NEXT) | instid1(VALU_DEP_2)
	v_add_nc_u32_e32 v45, 0x1a00, v4
	v_add_nc_u32_e32 v46, 0x2600, v5
	ds_store_2addr_b64 v72, v[0:1], v[27:28] offset1:208
	ds_store_2addr_b64 v74, v[2:3], v[29:30] offset0:32 offset1:240
	ds_store_2addr_b64 v45, v[8:9], v[31:32] offset1:208
	ds_store_2addr_b64 v46, v[10:11], v[35:36] offset0:32 offset1:240
	global_wb scope:SCOPE_SE
	s_wait_dscnt 0x0
	s_barrier_signal -1
	s_barrier_wait -1
	global_inv scope:SCOPE_SE
	ds_load_2addr_b64 v[0:3], v72 offset1:208
	ds_load_2addr_b64 v[4:7], v73 offset1:208
	ds_load_2addr_b64 v[8:11], v74 offset0:32 offset1:240
	ds_load_2addr_b64 v[12:15], v75 offset0:32 offset1:240
	global_wb scope:SCOPE_SE
	s_wait_dscnt 0x0
	s_barrier_signal -1
	s_barrier_wait -1
	global_inv scope:SCOPE_SE
	ds_store_2addr_b64 v72, v[37:38], v[33:34] offset1:208
	ds_store_2addr_b64 v74, v[39:40], v[21:22] offset0:32 offset1:240
	ds_store_2addr_b64 v45, v[41:42], v[23:24] offset1:208
	ds_store_2addr_b64 v46, v[43:44], v[25:26] offset0:32 offset1:240
	global_wb scope:SCOPE_SE
	s_wait_dscnt 0x0
	s_barrier_signal -1
	s_barrier_wait -1
	global_inv scope:SCOPE_SE
	s_clause 0x1
	global_load_b128 v[21:24], v[16:17], off offset:6448
	global_load_b128 v[25:28], v[16:17], off offset:9776
	ds_load_2addr_b64 v[29:32], v73 offset1:208
	ds_load_2addr_b64 v[33:36], v75 offset0:32 offset1:240
	s_wait_loadcnt_dscnt 0x101
	v_mul_f64_e32 v[37:38], v[29:30], v[23:24]
	s_wait_loadcnt 0x0
	v_mul_f64_e32 v[39:40], v[31:32], v[27:28]
	s_wait_dscnt 0x0
	v_mul_f64_e32 v[41:42], v[33:34], v[23:24]
	v_mul_f64_e32 v[43:44], v[35:36], v[27:28]
	;; [unrolled: 1-line block ×6, first 2 shown]
	v_fma_f64 v[37:38], v[4:5], v[21:22], -v[37:38]
	v_fma_f64 v[39:40], v[6:7], v[25:26], -v[39:40]
	;; [unrolled: 1-line block ×4, first 2 shown]
	v_fma_f64 v[29:30], v[29:30], v[21:22], v[45:46]
	v_fma_f64 v[31:32], v[31:32], v[25:26], v[47:48]
	;; [unrolled: 1-line block ×4, first 2 shown]
	ds_load_2addr_b64 v[4:7], v72 offset1:208
	v_add_f64_e64 v[25:26], v[0:1], -v[37:38]
	v_add_f64_e64 v[27:28], v[2:3], -v[39:40]
	;; [unrolled: 1-line block ×4, first 2 shown]
	ds_load_2addr_b64 v[12:15], v74 offset0:32 offset1:240
	s_wait_dscnt 0x1
	v_add_f64_e64 v[29:30], v[4:5], -v[29:30]
	v_add_f64_e64 v[31:32], v[6:7], -v[31:32]
	global_wb scope:SCOPE_SE
	s_wait_dscnt 0x0
	s_barrier_signal -1
	s_barrier_wait -1
	global_inv scope:SCOPE_SE
	v_add_f64_e64 v[21:22], v[12:13], -v[21:22]
	v_add_f64_e64 v[23:24], v[14:15], -v[23:24]
	v_fma_f64 v[0:1], v[0:1], 2.0, -v[25:26]
	v_fma_f64 v[2:3], v[2:3], 2.0, -v[27:28]
	;; [unrolled: 1-line block ×4, first 2 shown]
	ds_store_2addr_b64 v74, v[25:26], v[27:28] offset0:32 offset1:240
	ds_store_2addr_b64 v75, v[33:34], v[35:36] offset0:32 offset1:240
	ds_store_2addr_b64 v72, v[0:1], v[2:3] offset1:208
	ds_store_2addr_b64 v73, v[8:9], v[10:11] offset1:208
	v_fma_f64 v[37:38], v[4:5], 2.0, -v[29:30]
	v_fma_f64 v[39:40], v[6:7], 2.0, -v[31:32]
	;; [unrolled: 1-line block ×4, first 2 shown]
	global_wb scope:SCOPE_SE
	s_wait_dscnt 0x0
	s_barrier_signal -1
	s_barrier_wait -1
	global_inv scope:SCOPE_SE
	ds_load_2addr_b64 v[4:7], v72 offset1:208
	ds_load_2addr_b64 v[12:15], v73 offset1:208
	ds_load_2addr_b64 v[0:3], v74 offset0:32 offset1:240
	ds_load_2addr_b64 v[8:11], v75 offset0:32 offset1:240
	global_wb scope:SCOPE_SE
	s_wait_dscnt 0x0
	s_barrier_signal -1
	s_barrier_wait -1
	global_inv scope:SCOPE_SE
	ds_store_2addr_b64 v72, v[37:38], v[39:40] offset1:208
	ds_store_2addr_b64 v74, v[29:30], v[31:32] offset0:32 offset1:240
	ds_store_2addr_b64 v73, v[41:42], v[43:44] offset1:208
	ds_store_2addr_b64 v75, v[21:22], v[23:24] offset0:32 offset1:240
	global_wb scope:SCOPE_SE
	s_wait_dscnt 0x0
	s_barrier_signal -1
	s_barrier_wait -1
	global_inv scope:SCOPE_SE
	s_and_saveexec_b32 s0, vcc_lo
	s_cbranch_execz .LBB0_17
; %bb.16:
	s_clause 0x3
	global_load_b128 v[21:24], v[16:17], off offset:23088
	global_load_b128 v[25:28], v[16:17], off offset:13104
	;; [unrolled: 1-line block ×4, first 2 shown]
	v_mad_co_u64_u32 v[57:58], null, s8, v20, 0
	v_add_nc_u32_e32 v16, 0x1a00, v72
	v_mad_co_u64_u32 v[55:56], null, s8, v68, 0
	v_add_nc_u32_e32 v17, 0x2600, v72
	ds_load_2addr_b64 v[37:40], v16 offset1:208
	ds_load_2addr_b64 v[41:44], v17 offset0:32 offset1:240
	ds_load_2addr_b64 v[45:48], v72 offset1:208
	v_mul_hi_u32 v62, 0x4ec4ec4f, v18
	v_add_co_u32 v63, vcc_lo, s10, v70
	s_wait_alu 0xfffd
	v_add_co_ci_u32_e32 v64, vcc_lo, s11, v71, vcc_lo
	s_wait_loadcnt 0x3
	v_mul_f64_e32 v[16:17], v[10:11], v[23:24]
	s_wait_loadcnt 0x2
	v_mul_f64_e32 v[49:50], v[12:13], v[27:28]
	s_wait_dscnt 0x2
	v_mul_f64_e32 v[27:28], v[37:38], v[27:28]
	s_wait_loadcnt 0x1
	v_mul_f64_e32 v[51:52], v[14:15], v[31:32]
	v_mul_f64_e32 v[31:32], v[39:40], v[31:32]
	s_wait_loadcnt 0x0
	v_mul_f64_e32 v[53:54], v[8:9], v[35:36]
	s_wait_dscnt 0x1
	v_mul_f64_e32 v[35:36], v[41:42], v[35:36]
	v_mul_f64_e32 v[23:24], v[43:44], v[23:24]
	v_fma_f64 v[16:17], v[43:44], v[21:22], v[16:17]
	v_fma_f64 v[37:38], v[37:38], v[25:26], v[49:50]
	v_fma_f64 v[12:13], v[12:13], v[25:26], -v[27:28]
	v_fma_f64 v[25:26], v[39:40], v[29:30], v[51:52]
	v_fma_f64 v[27:28], v[14:15], v[29:30], -v[31:32]
	v_mov_b32_e32 v14, v56
	v_fma_f64 v[29:30], v[41:42], v[33:34], v[53:54]
	v_fma_f64 v[31:32], v[8:9], v[33:34], -v[35:36]
	v_fma_f64 v[33:34], v[10:11], v[21:22], -v[23:24]
	v_mul_hi_u32 v21, 0x4ec4ec4f, v19
	v_mov_b32_e32 v15, v58
	v_lshrrev_b32_e32 v24, 8, v62
	s_delay_alu instid0(VALU_DEP_1) | instskip(NEXT) | instid1(VALU_DEP_4)
	v_mad_u32_u24 v44, 0x340, v24, v18
	v_lshrrev_b32_e32 v41, 8, v21
	s_delay_alu instid0(VALU_DEP_4) | instskip(NEXT) | instid1(VALU_DEP_1)
	v_mad_co_u64_u32 v[21:22], null, s9, v68, v[14:15]
	v_dual_mov_b32 v56, v21 :: v_dual_add_nc_u32 v61, 0x410, v68
	s_delay_alu instid0(VALU_DEP_1) | instskip(SKIP_2) | instid1(VALU_DEP_3)
	v_mad_co_u64_u32 v[39:40], null, s8, v61, 0
	v_add_nc_u32_e32 v60, 0x340, v68
	v_mad_co_u64_u32 v[22:23], null, s9, v20, v[15:16]
	v_mov_b32_e32 v15, v40
	s_delay_alu instid0(VALU_DEP_3)
	v_mad_co_u64_u32 v[35:36], null, s8, v60, 0
	v_add_nc_u32_e32 v59, 0xc00, v72
	v_add_f64_e64 v[20:21], v[6:7], -v[27:28]
	v_mov_b32_e32 v58, v22
	s_wait_dscnt 0x0
	v_add_f64_e64 v[22:23], v[47:48], -v[25:26]
	v_add_f64_e64 v[24:25], v[0:1], -v[31:32]
	v_mov_b32_e32 v14, v36
	ds_load_2addr_b64 v[8:11], v59 offset0:32 offset1:240
	v_mad_u32_u24 v59, 0x340, v41, v19
	v_add_f64_e64 v[18:19], v[45:46], -v[37:38]
	v_mad_co_u64_u32 v[40:41], null, s9, v60, v[14:15]
	v_mad_co_u64_u32 v[41:42], null, s9, v61, v[15:16]
	;; [unrolled: 1-line block ×4, first 2 shown]
	v_add_nc_u32_e32 v60, 0x340, v44
	v_mov_b32_e32 v36, v40
	v_add_nc_u32_e32 v62, 0x340, v59
	v_mov_b32_e32 v40, v41
	v_mov_b32_e32 v32, v43
	s_delay_alu instid0(VALU_DEP_4) | instskip(NEXT) | instid1(VALU_DEP_4)
	v_lshlrev_b64_e32 v[53:54], 4, v[35:36]
	v_mad_co_u64_u32 v[51:52], null, s8, v62, 0
	s_wait_dscnt 0x0
	v_add_f64_e64 v[14:15], v[10:11], -v[16:17]
	v_add_f64_e64 v[16:17], v[4:5], -v[12:13]
	v_add_f64_e64 v[26:27], v[8:9], -v[29:30]
	v_add_f64_e64 v[12:13], v[2:3], -v[33:34]
	v_mov_b32_e32 v33, v50
	v_mad_co_u64_u32 v[37:38], null, s8, v60, 0
	v_lshlrev_b64_e32 v[28:29], 4, v[55:56]
	v_lshlrev_b64_e32 v[39:40], 4, v[39:40]
	s_delay_alu instid0(VALU_DEP_4) | instskip(NEXT) | instid1(VALU_DEP_1)
	v_mad_co_u64_u32 v[34:35], null, s9, v44, v[32:33]
	v_dual_mov_b32 v32, v38 :: v_dual_mov_b32 v43, v34
	v_lshlrev_b64_e32 v[30:31], 4, v[57:58]
	v_mad_co_u64_u32 v[55:56], null, s9, v59, v[33:34]
	v_mov_b32_e32 v33, v52
	v_add_co_u32 v56, vcc_lo, v63, v28
	s_wait_alu 0xfffd
	v_add_co_ci_u32_e32 v57, vcc_lo, v64, v29, vcc_lo
	v_add_co_u32 v58, vcc_lo, v63, v30
	s_wait_alu 0xfffd
	v_add_co_ci_u32_e32 v59, vcc_lo, v64, v31, vcc_lo
	v_fma_f64 v[30:31], v[45:46], 2.0, -v[18:19]
	v_mad_co_u64_u32 v[60:61], null, s9, v60, v[32:33]
	v_mad_co_u64_u32 v[61:62], null, s9, v62, v[33:34]
	v_fma_f64 v[34:35], v[47:48], 2.0, -v[22:23]
	v_fma_f64 v[32:33], v[6:7], 2.0, -v[20:21]
	v_mov_b32_e32 v50, v55
	v_fma_f64 v[10:11], v[10:11], 2.0, -v[14:15]
	v_fma_f64 v[28:29], v[4:5], 2.0, -v[16:17]
	;; [unrolled: 1-line block ×5, first 2 shown]
	v_add_co_u32 v0, vcc_lo, v63, v53
	v_lshlrev_b64_e32 v[2:3], 4, v[42:43]
	v_mov_b32_e32 v38, v60
	s_wait_alu 0xfffd
	v_add_co_ci_u32_e32 v1, vcc_lo, v64, v54, vcc_lo
	v_add_co_u32 v39, vcc_lo, v63, v39
	v_lshlrev_b64_e32 v[41:42], 4, v[49:50]
	v_mov_b32_e32 v52, v61
	s_wait_alu 0xfffd
	v_add_co_ci_u32_e32 v40, vcc_lo, v64, v40, vcc_lo
	v_lshlrev_b64_e32 v[36:37], 4, v[37:38]
	v_add_co_u32 v2, vcc_lo, v63, v2
	s_wait_alu 0xfffd
	v_add_co_ci_u32_e32 v3, vcc_lo, v64, v3, vcc_lo
	v_lshlrev_b64_e32 v[43:44], 4, v[51:52]
	v_add_co_u32 v41, vcc_lo, v63, v41
	s_wait_alu 0xfffd
	v_add_co_ci_u32_e32 v42, vcc_lo, v64, v42, vcc_lo
	v_add_co_u32 v36, vcc_lo, v63, v36
	s_wait_alu 0xfffd
	v_add_co_ci_u32_e32 v37, vcc_lo, v64, v37, vcc_lo
	;; [unrolled: 3-line block ×3, first 2 shown]
	s_clause 0x7
	global_store_b128 v[56:57], v[28:31], off
	global_store_b128 v[0:1], v[16:19], off
	;; [unrolled: 1-line block ×8, first 2 shown]
.LBB0_17:
	s_nop 0
	s_sendmsg sendmsg(MSG_DEALLOC_VGPRS)
	s_endpgm
	.section	.rodata,"a",@progbits
	.p2align	6, 0x0
	.amdhsa_kernel fft_rtc_fwd_len1664_factors_13_2_2_4_2_2_2_wgs_208_tpt_208_halfLds_dp_ip_CI_sbrr_dirReg
		.amdhsa_group_segment_fixed_size 0
		.amdhsa_private_segment_fixed_size 0
		.amdhsa_kernarg_size 88
		.amdhsa_user_sgpr_count 2
		.amdhsa_user_sgpr_dispatch_ptr 0
		.amdhsa_user_sgpr_queue_ptr 0
		.amdhsa_user_sgpr_kernarg_segment_ptr 1
		.amdhsa_user_sgpr_dispatch_id 0
		.amdhsa_user_sgpr_private_segment_size 0
		.amdhsa_wavefront_size32 1
		.amdhsa_uses_dynamic_stack 0
		.amdhsa_enable_private_segment 0
		.amdhsa_system_sgpr_workgroup_id_x 1
		.amdhsa_system_sgpr_workgroup_id_y 0
		.amdhsa_system_sgpr_workgroup_id_z 0
		.amdhsa_system_sgpr_workgroup_info 0
		.amdhsa_system_vgpr_workitem_id 0
		.amdhsa_next_free_vgpr 152
		.amdhsa_next_free_sgpr 40
		.amdhsa_reserve_vcc 1
		.amdhsa_float_round_mode_32 0
		.amdhsa_float_round_mode_16_64 0
		.amdhsa_float_denorm_mode_32 3
		.amdhsa_float_denorm_mode_16_64 3
		.amdhsa_fp16_overflow 0
		.amdhsa_workgroup_processor_mode 1
		.amdhsa_memory_ordered 1
		.amdhsa_forward_progress 0
		.amdhsa_round_robin_scheduling 0
		.amdhsa_exception_fp_ieee_invalid_op 0
		.amdhsa_exception_fp_denorm_src 0
		.amdhsa_exception_fp_ieee_div_zero 0
		.amdhsa_exception_fp_ieee_overflow 0
		.amdhsa_exception_fp_ieee_underflow 0
		.amdhsa_exception_fp_ieee_inexact 0
		.amdhsa_exception_int_div_zero 0
	.end_amdhsa_kernel
	.text
.Lfunc_end0:
	.size	fft_rtc_fwd_len1664_factors_13_2_2_4_2_2_2_wgs_208_tpt_208_halfLds_dp_ip_CI_sbrr_dirReg, .Lfunc_end0-fft_rtc_fwd_len1664_factors_13_2_2_4_2_2_2_wgs_208_tpt_208_halfLds_dp_ip_CI_sbrr_dirReg
                                        ; -- End function
	.section	.AMDGPU.csdata,"",@progbits
; Kernel info:
; codeLenInByte = 10192
; NumSgprs: 42
; NumVgprs: 152
; ScratchSize: 0
; MemoryBound: 1
; FloatMode: 240
; IeeeMode: 1
; LDSByteSize: 0 bytes/workgroup (compile time only)
; SGPRBlocks: 5
; VGPRBlocks: 18
; NumSGPRsForWavesPerEU: 42
; NumVGPRsForWavesPerEU: 152
; Occupancy: 9
; WaveLimiterHint : 1
; COMPUTE_PGM_RSRC2:SCRATCH_EN: 0
; COMPUTE_PGM_RSRC2:USER_SGPR: 2
; COMPUTE_PGM_RSRC2:TRAP_HANDLER: 0
; COMPUTE_PGM_RSRC2:TGID_X_EN: 1
; COMPUTE_PGM_RSRC2:TGID_Y_EN: 0
; COMPUTE_PGM_RSRC2:TGID_Z_EN: 0
; COMPUTE_PGM_RSRC2:TIDIG_COMP_CNT: 0
	.text
	.p2alignl 7, 3214868480
	.fill 96, 4, 3214868480
	.type	__hip_cuid_8c35dd434017bdf,@object ; @__hip_cuid_8c35dd434017bdf
	.section	.bss,"aw",@nobits
	.globl	__hip_cuid_8c35dd434017bdf
__hip_cuid_8c35dd434017bdf:
	.byte	0                               ; 0x0
	.size	__hip_cuid_8c35dd434017bdf, 1

	.ident	"AMD clang version 19.0.0git (https://github.com/RadeonOpenCompute/llvm-project roc-6.4.0 25133 c7fe45cf4b819c5991fe208aaa96edf142730f1d)"
	.section	".note.GNU-stack","",@progbits
	.addrsig
	.addrsig_sym __hip_cuid_8c35dd434017bdf
	.amdgpu_metadata
---
amdhsa.kernels:
  - .args:
      - .actual_access:  read_only
        .address_space:  global
        .offset:         0
        .size:           8
        .value_kind:     global_buffer
      - .offset:         8
        .size:           8
        .value_kind:     by_value
      - .actual_access:  read_only
        .address_space:  global
        .offset:         16
        .size:           8
        .value_kind:     global_buffer
      - .actual_access:  read_only
        .address_space:  global
        .offset:         24
        .size:           8
        .value_kind:     global_buffer
      - .offset:         32
        .size:           8
        .value_kind:     by_value
      - .actual_access:  read_only
        .address_space:  global
        .offset:         40
        .size:           8
        .value_kind:     global_buffer
      - .actual_access:  read_only
        .address_space:  global
        .offset:         48
        .size:           8
        .value_kind:     global_buffer
      - .offset:         56
        .size:           4
        .value_kind:     by_value
      - .actual_access:  read_only
        .address_space:  global
        .offset:         64
        .size:           8
        .value_kind:     global_buffer
      - .actual_access:  read_only
        .address_space:  global
        .offset:         72
        .size:           8
        .value_kind:     global_buffer
      - .address_space:  global
        .offset:         80
        .size:           8
        .value_kind:     global_buffer
    .group_segment_fixed_size: 0
    .kernarg_segment_align: 8
    .kernarg_segment_size: 88
    .language:       OpenCL C
    .language_version:
      - 2
      - 0
    .max_flat_workgroup_size: 208
    .name:           fft_rtc_fwd_len1664_factors_13_2_2_4_2_2_2_wgs_208_tpt_208_halfLds_dp_ip_CI_sbrr_dirReg
    .private_segment_fixed_size: 0
    .sgpr_count:     42
    .sgpr_spill_count: 0
    .symbol:         fft_rtc_fwd_len1664_factors_13_2_2_4_2_2_2_wgs_208_tpt_208_halfLds_dp_ip_CI_sbrr_dirReg.kd
    .uniform_work_group_size: 1
    .uses_dynamic_stack: false
    .vgpr_count:     152
    .vgpr_spill_count: 0
    .wavefront_size: 32
    .workgroup_processor_mode: 1
amdhsa.target:   amdgcn-amd-amdhsa--gfx1201
amdhsa.version:
  - 1
  - 2
...

	.end_amdgpu_metadata
